;; amdgpu-corpus repo=ROCm/rocFFT kind=compiled arch=gfx950 opt=O3
	.text
	.amdgcn_target "amdgcn-amd-amdhsa--gfx950"
	.amdhsa_code_object_version 6
	.protected	fft_rtc_fwd_len320_factors_10_4_4_2_wgs_64_tpt_16_halfLds_half_ip_CI_unitstride_sbrr_dirReg ; -- Begin function fft_rtc_fwd_len320_factors_10_4_4_2_wgs_64_tpt_16_halfLds_half_ip_CI_unitstride_sbrr_dirReg
	.globl	fft_rtc_fwd_len320_factors_10_4_4_2_wgs_64_tpt_16_halfLds_half_ip_CI_unitstride_sbrr_dirReg
	.p2align	8
	.type	fft_rtc_fwd_len320_factors_10_4_4_2_wgs_64_tpt_16_halfLds_half_ip_CI_unitstride_sbrr_dirReg,@function
fft_rtc_fwd_len320_factors_10_4_4_2_wgs_64_tpt_16_halfLds_half_ip_CI_unitstride_sbrr_dirReg: ; @fft_rtc_fwd_len320_factors_10_4_4_2_wgs_64_tpt_16_halfLds_half_ip_CI_unitstride_sbrr_dirReg
; %bb.0:
	s_load_dwordx2 s[8:9], s[0:1], 0x50
	s_load_dwordx4 s[4:7], s[0:1], 0x0
	s_load_dwordx2 s[10:11], s[0:1], 0x18
	v_lshrrev_b32_e32 v1, 4, v0
	v_lshl_or_b32 v6, s2, 2, v1
	v_mov_b32_e32 v4, 0
	s_waitcnt lgkmcnt(0)
	v_cmp_lt_u64_e64 s[2:3], s[6:7], 2
	v_mov_b32_e32 v7, v4
	s_and_b64 vcc, exec, s[2:3]
	v_mov_b64_e32 v[2:3], 0
	s_cbranch_vccnz .LBB0_8
; %bb.1:
	s_load_dwordx2 s[2:3], s[0:1], 0x10
	s_add_u32 s12, s10, 8
	s_addc_u32 s13, s11, 0
	s_mov_b64 s[14:15], 1
	v_mov_b64_e32 v[2:3], 0
	s_waitcnt lgkmcnt(0)
	s_add_u32 s16, s2, 8
	s_addc_u32 s17, s3, 0
.LBB0_2:                                ; =>This Inner Loop Header: Depth=1
	s_load_dwordx2 s[18:19], s[16:17], 0x0
                                        ; implicit-def: $vgpr8_vgpr9
	s_waitcnt lgkmcnt(0)
	v_or_b32_e32 v5, s19, v7
	v_cmp_ne_u64_e32 vcc, 0, v[4:5]
	s_and_saveexec_b64 s[2:3], vcc
	s_xor_b64 s[20:21], exec, s[2:3]
	s_cbranch_execz .LBB0_4
; %bb.3:                                ;   in Loop: Header=BB0_2 Depth=1
	v_cvt_f32_u32_e32 v5, s18
	v_cvt_f32_u32_e32 v8, s19
	s_sub_u32 s2, 0, s18
	s_subb_u32 s3, 0, s19
	v_fmac_f32_e32 v5, 0x4f800000, v8
	v_rcp_f32_e32 v5, v5
	s_nop 0
	v_mul_f32_e32 v5, 0x5f7ffffc, v5
	v_mul_f32_e32 v8, 0x2f800000, v5
	v_trunc_f32_e32 v8, v8
	v_fmac_f32_e32 v5, 0xcf800000, v8
	v_cvt_u32_f32_e32 v12, v8
	v_cvt_u32_f32_e32 v5, v5
	v_mul_lo_u32 v8, s2, v12
	v_mul_hi_u32 v10, s2, v5
	v_mul_lo_u32 v9, s3, v5
	v_add_u32_e32 v10, v10, v8
	v_mul_lo_u32 v13, s2, v5
	v_add_u32_e32 v14, v10, v9
	v_mul_hi_u32 v8, v5, v13
	v_mul_hi_u32 v11, v5, v14
	v_mul_lo_u32 v10, v5, v14
	v_mov_b32_e32 v9, v4
	v_lshl_add_u64 v[8:9], v[8:9], 0, v[10:11]
	v_mul_hi_u32 v11, v12, v13
	v_mul_lo_u32 v13, v12, v13
	v_add_co_u32_e32 v8, vcc, v8, v13
	v_mul_hi_u32 v10, v12, v14
	s_nop 0
	v_addc_co_u32_e32 v8, vcc, v9, v11, vcc
	v_mov_b32_e32 v9, v4
	s_nop 0
	v_addc_co_u32_e32 v11, vcc, 0, v10, vcc
	v_mul_lo_u32 v10, v12, v14
	v_lshl_add_u64 v[8:9], v[8:9], 0, v[10:11]
	v_add_co_u32_e32 v5, vcc, v5, v8
	v_mul_lo_u32 v10, s2, v5
	s_nop 0
	v_addc_co_u32_e32 v12, vcc, v12, v9, vcc
	v_mul_lo_u32 v8, s2, v12
	v_mul_hi_u32 v9, s2, v5
	v_add_u32_e32 v8, v9, v8
	v_mul_lo_u32 v9, s3, v5
	v_add_u32_e32 v13, v8, v9
	v_mul_hi_u32 v15, v12, v10
	v_mul_lo_u32 v16, v12, v10
	v_mul_hi_u32 v9, v5, v13
	v_mul_lo_u32 v8, v5, v13
	v_mul_hi_u32 v10, v5, v10
	v_mov_b32_e32 v11, v4
	v_lshl_add_u64 v[8:9], v[10:11], 0, v[8:9]
	v_add_co_u32_e32 v8, vcc, v8, v16
	v_mul_hi_u32 v14, v12, v13
	s_nop 0
	v_addc_co_u32_e32 v8, vcc, v9, v15, vcc
	v_mul_lo_u32 v10, v12, v13
	s_nop 0
	v_addc_co_u32_e32 v11, vcc, 0, v14, vcc
	v_mov_b32_e32 v9, v4
	v_lshl_add_u64 v[8:9], v[8:9], 0, v[10:11]
	v_add_co_u32_e32 v5, vcc, v5, v8
	v_mul_hi_u32 v10, v6, v5
	s_nop 0
	v_addc_co_u32_e32 v12, vcc, v12, v9, vcc
	v_mad_u64_u32 v[8:9], s[2:3], v6, v12, 0
	v_mov_b32_e32 v11, v4
	v_lshl_add_u64 v[8:9], v[10:11], 0, v[8:9]
	v_mad_u64_u32 v[10:11], s[2:3], v7, v12, 0
	v_mad_u64_u32 v[12:13], s[2:3], v7, v5, 0
	v_add_co_u32_e32 v5, vcc, v8, v12
	s_nop 1
	v_addc_co_u32_e32 v8, vcc, v9, v13, vcc
	v_mov_b32_e32 v9, v4
	s_nop 0
	v_addc_co_u32_e32 v11, vcc, 0, v11, vcc
	v_lshl_add_u64 v[8:9], v[8:9], 0, v[10:11]
	v_mul_lo_u32 v5, s19, v8
	v_mul_lo_u32 v12, s18, v9
	v_mad_u64_u32 v[10:11], s[2:3], s18, v8, 0
	v_add3_u32 v5, v11, v12, v5
	v_sub_u32_e32 v11, v7, v5
	v_mov_b32_e32 v12, s19
	v_sub_co_u32_e32 v14, vcc, v6, v10
	s_nop 1
	v_subb_co_u32_e64 v10, s[2:3], v11, v12, vcc
	v_subrev_co_u32_e64 v11, s[2:3], s18, v14
	v_subb_co_u32_e32 v5, vcc, v7, v5, vcc
	s_nop 0
	v_subbrev_co_u32_e64 v10, s[2:3], 0, v10, s[2:3]
	v_cmp_le_u32_e64 s[2:3], s19, v10
	v_cmp_le_u32_e32 vcc, s19, v5
	s_nop 0
	v_cndmask_b32_e64 v12, 0, -1, s[2:3]
	v_cmp_le_u32_e64 s[2:3], s18, v11
	s_nop 1
	v_cndmask_b32_e64 v11, 0, -1, s[2:3]
	v_cmp_eq_u32_e64 s[2:3], s19, v10
	s_nop 1
	v_cndmask_b32_e64 v15, v12, v11, s[2:3]
	v_lshl_add_u64 v[10:11], v[8:9], 0, 2
	v_lshl_add_u64 v[12:13], v[8:9], 0, 1
	v_cmp_ne_u32_e64 s[2:3], 0, v15
	s_nop 1
	v_cndmask_b32_e64 v11, v13, v11, s[2:3]
	v_cndmask_b32_e64 v13, 0, -1, vcc
	v_cmp_le_u32_e32 vcc, s18, v14
	s_nop 1
	v_cndmask_b32_e64 v14, 0, -1, vcc
	v_cmp_eq_u32_e32 vcc, s19, v5
	s_nop 1
	v_cndmask_b32_e32 v5, v13, v14, vcc
	v_cmp_ne_u32_e32 vcc, 0, v5
	v_cndmask_b32_e64 v5, v12, v10, s[2:3]
	s_nop 0
	v_cndmask_b32_e32 v9, v9, v11, vcc
	v_cndmask_b32_e32 v8, v8, v5, vcc
.LBB0_4:                                ;   in Loop: Header=BB0_2 Depth=1
	s_andn2_saveexec_b64 s[2:3], s[20:21]
	s_cbranch_execz .LBB0_6
; %bb.5:                                ;   in Loop: Header=BB0_2 Depth=1
	v_cvt_f32_u32_e32 v5, s18
	s_sub_i32 s20, 0, s18
	v_rcp_iflag_f32_e32 v5, v5
	s_nop 0
	v_mul_f32_e32 v5, 0x4f7ffffe, v5
	v_cvt_u32_f32_e32 v5, v5
	v_mul_lo_u32 v8, s20, v5
	v_mul_hi_u32 v8, v5, v8
	v_add_u32_e32 v5, v5, v8
	v_mul_hi_u32 v5, v6, v5
	v_mul_lo_u32 v8, v5, s18
	v_sub_u32_e32 v8, v6, v8
	v_add_u32_e32 v9, 1, v5
	v_subrev_u32_e32 v10, s18, v8
	v_cmp_le_u32_e32 vcc, s18, v8
	s_nop 1
	v_cndmask_b32_e32 v8, v8, v10, vcc
	v_cndmask_b32_e32 v5, v5, v9, vcc
	v_add_u32_e32 v9, 1, v5
	v_cmp_le_u32_e32 vcc, s18, v8
	s_nop 1
	v_cndmask_b32_e32 v8, v5, v9, vcc
	v_mov_b32_e32 v9, v4
.LBB0_6:                                ;   in Loop: Header=BB0_2 Depth=1
	s_or_b64 exec, exec, s[2:3]
	v_mad_u64_u32 v[10:11], s[2:3], v8, s18, 0
	s_load_dwordx2 s[2:3], s[12:13], 0x0
	v_mul_lo_u32 v5, v9, s18
	v_mul_lo_u32 v12, v8, s19
	v_add3_u32 v5, v11, v12, v5
	v_sub_co_u32_e32 v6, vcc, v6, v10
	s_add_u32 s14, s14, 1
	s_nop 0
	v_subb_co_u32_e32 v5, vcc, v7, v5, vcc
	s_addc_u32 s15, s15, 0
	s_waitcnt lgkmcnt(0)
	v_mul_lo_u32 v5, s2, v5
	v_mul_lo_u32 v7, s3, v6
	v_mad_u64_u32 v[2:3], s[2:3], s2, v6, v[2:3]
	s_add_u32 s12, s12, 8
	v_add3_u32 v3, v7, v3, v5
	s_addc_u32 s13, s13, 0
	v_mov_b64_e32 v[6:7], s[6:7]
	s_add_u32 s16, s16, 8
	v_cmp_ge_u64_e32 vcc, s[14:15], v[6:7]
	s_addc_u32 s17, s17, 0
	s_cbranch_vccnz .LBB0_9
; %bb.7:                                ;   in Loop: Header=BB0_2 Depth=1
	v_mov_b64_e32 v[6:7], v[8:9]
	s_branch .LBB0_2
.LBB0_8:
	v_mov_b64_e32 v[8:9], v[6:7]
.LBB0_9:
	s_lshl_b64 s[2:3], s[6:7], 3
	s_add_u32 s2, s10, s2
	s_addc_u32 s3, s11, s3
	s_load_dwordx2 s[6:7], s[2:3], 0x0
	s_load_dwordx2 s[10:11], s[0:1], 0x20
	v_and_b32_e32 v7, 15, v0
	v_or_b32_e32 v12, 16, v7
	v_or_b32_e32 v14, 32, v7
	s_waitcnt lgkmcnt(0)
	v_mul_lo_u32 v4, s6, v9
	v_mul_lo_u32 v5, s7, v8
	v_mad_u64_u32 v[2:3], s[0:1], s6, v8, v[2:3]
	v_add3_u32 v3, v5, v3, v4
	v_cmp_gt_u64_e32 vcc, s[10:11], v[8:9]
	v_cmp_le_u64_e64 s[0:1], s[10:11], v[8:9]
	v_or_b32_e32 v16, 48, v7
	v_or_b32_e32 v18, 64, v7
                                        ; implicit-def: $vgpr20
                                        ; implicit-def: $vgpr22
                                        ; implicit-def: $vgpr24
                                        ; implicit-def: $vgpr26
                                        ; implicit-def: $vgpr28
	s_and_saveexec_b64 s[2:3], s[0:1]
	s_xor_b64 s[0:1], exec, s[2:3]
; %bb.10:
	v_or_b32_e32 v12, 16, v7
	v_or_b32_e32 v20, 0x50, v7
	;; [unrolled: 1-line block ×9, first 2 shown]
; %bb.11:
	s_or_saveexec_b64 s[0:1], s[0:1]
	v_lshl_add_u64 v[8:9], v[2:3], 2, s[8:9]
	v_lshlrev_b32_e32 v10, 2, v7
                                        ; implicit-def: $vgpr35
                                        ; implicit-def: $vgpr3
                                        ; implicit-def: $vgpr36
                                        ; implicit-def: $vgpr33
                                        ; implicit-def: $vgpr38
                                        ; implicit-def: $vgpr11
                                        ; implicit-def: $vgpr39
                                        ; implicit-def: $vgpr13
                                        ; implicit-def: $vgpr41
                                        ; implicit-def: $vgpr31
                                        ; implicit-def: $vgpr21
                                        ; implicit-def: $vgpr44
                                        ; implicit-def: $vgpr23
                                        ; implicit-def: $vgpr5
                                        ; implicit-def: $vgpr25
                                        ; implicit-def: $vgpr19
                                        ; implicit-def: $vgpr27
                                        ; implicit-def: $vgpr17
                                        ; implicit-def: $vgpr30
                                        ; implicit-def: $vgpr29
                                        ; implicit-def: $vgpr4
                                        ; implicit-def: $vgpr0
                                        ; implicit-def: $vgpr2
                                        ; implicit-def: $vgpr6
                                        ; implicit-def: $vgpr43
                                        ; implicit-def: $vgpr40
                                        ; implicit-def: $vgpr34
                                        ; implicit-def: $vgpr37
                                        ; implicit-def: $vgpr42
                                        ; implicit-def: $vgpr32
	s_xor_b64 exec, exec, s[0:1]
	s_cbranch_execz .LBB0_13
; %bb.12:
	v_mov_b32_e32 v11, 0
	v_lshl_add_u64 v[20:21], v[8:9], 0, v[10:11]
	global_load_dword v3, v[20:21], off
	global_load_dword v11, v[20:21], off offset:512
	global_load_dword v13, v[20:21], off offset:768
	global_load_dword v31, v[20:21], off offset:1024
	global_load_dword v0, v[20:21], off offset:448
	global_load_dword v34, v[20:21], off offset:384
	global_load_dword v5, v[20:21], off offset:320
	global_load_dword v33, v[20:21], off offset:256
	global_load_dword v43, v[20:21], off offset:192
	global_load_dword v32, v[20:21], off offset:128
	global_load_dword v44, v[20:21], off offset:64
	global_load_dword v2, v[20:21], off offset:960
	global_load_dword v37, v[20:21], off offset:896
	global_load_dword v17, v[20:21], off offset:832
	global_load_dword v4, v[20:21], off offset:704
	global_load_dword v40, v[20:21], off offset:640
	global_load_dword v19, v[20:21], off offset:576
	global_load_dword v6, v[20:21], off offset:1216
	global_load_dword v29, v[20:21], off offset:1088
	global_load_dword v42, v[20:21], off offset:1152
	v_or_b32_e32 v22, 0x60, v7
	v_or_b32_e32 v26, 0x80, v7
	;; [unrolled: 1-line block ×5, first 2 shown]
	s_waitcnt vmcnt(19)
	v_lshrrev_b32_e32 v35, 16, v3
	s_waitcnt vmcnt(18)
	v_lshrrev_b32_e32 v38, 16, v11
	;; [unrolled: 2-line block ×10, first 2 shown]
.LBB0_13:
	s_or_b64 exec, exec, s[0:1]
	v_add_f16_e32 v15, v11, v13
	v_fma_f16 v15, v15, -0.5, v3
	v_sub_f16_e32 v45, v36, v41
	s_movk_i32 s0, 0x3b9c
	s_mov_b32 s6, 0xbb9c
	v_fma_f16 v46, v45, s0, v15
	v_sub_f16_e32 v47, v38, v39
	s_movk_i32 s1, 0x38b4
	v_sub_f16_e32 v48, v33, v11
	v_sub_f16_e32 v49, v31, v13
	v_fma_f16 v15, v45, s6, v15
	s_mov_b32 s3, 0xb8b4
	v_fma_f16 v46, v47, s1, v46
	v_add_f16_e32 v48, v48, v49
	s_movk_i32 s2, 0x34f2
	v_fma_f16 v15, v47, s3, v15
	v_pk_add_f16 v52, v34, v40 neg_lo:[0,1] neg_hi:[0,1]
	s_waitcnt vmcnt(0)
	v_pk_add_f16 v53, v42, v37 neg_lo:[0,1] neg_hi:[0,1]
	v_fma_f16 v46, v48, s2, v46
	v_fma_f16 v15, v48, s2, v15
	v_add_f16_e32 v48, v40, v37
	v_pk_add_f16 v49, v34, v42 neg_lo:[0,1] neg_hi:[0,1]
	v_pk_add_f16 v52, v52, v53
	v_pk_add_f16 v53, v40, v37 neg_lo:[0,1] neg_hi:[0,1]
	s_mov_b32 s7, 0xffff
	v_fma_f16 v48, v48, -0.5, v32
	v_lshrrev_b32_e32 v50, 16, v49
	v_bfi_b32 v52, s7, v52, v53
	s_mov_b32 s9, 0x38b434f2
	v_fma_f16 v51, v50, s0, v48
	v_pk_mul_f16 v52, v52, s9
	v_fma_f16 v48, v50, s6, v48
	v_add_f16_sdwa v51, v52, v51 dst_sel:DWORD dst_unused:UNUSED_PAD src0_sel:WORD_1 src1_sel:DWORD
	v_sub_f16_sdwa v48, v48, v52 dst_sel:DWORD dst_unused:UNUSED_PAD src0_sel:DWORD src1_sel:WORD_1
	v_add_f16_e32 v51, v52, v51
	v_add_f16_e32 v48, v52, v48
	v_sub_f16_sdwa v50, v34, v40 dst_sel:DWORD dst_unused:UNUSED_PAD src0_sel:WORD_1 src1_sel:WORD_1
	v_sub_f16_sdwa v52, v42, v37 dst_sel:DWORD dst_unused:UNUSED_PAD src0_sel:WORD_1 src1_sel:WORD_1
	v_add_f16_e32 v50, v50, v52
	v_lshrrev_b32_e32 v52, 16, v32
	v_add_f16_sdwa v54, v40, v37 dst_sel:DWORD dst_unused:UNUSED_PAD src0_sel:WORD_1 src1_sel:WORD_1
	v_fma_f16 v54, v54, -0.5, v52
	v_fma_f16 v55, v49, s6, v54
	v_fma_f16 v54, v49, s0, v54
	;; [unrolled: 1-line block ×6, first 2 shown]
	v_add_f16_e32 v54, v3, v33
	v_add_f16_e32 v56, v32, v34
	;; [unrolled: 1-line block ×9, first 2 shown]
	v_sub_f16_e32 v54, v54, v56
	s_movk_i32 s8, 0x3a79
	v_mul_f16_e32 v56, 0x38b4, v55
	v_fma_f16 v56, v51, s8, v56
	v_add_f16_e32 v58, v46, v56
	v_sub_f16_e32 v46, v46, v56
	v_mul_f16_e32 v56, 0x3a79, v48
	v_fma_f16 v56, v50, s1, -v56
	v_add_f16_e32 v59, v15, v56
	v_sub_f16_e32 v56, v15, v56
	v_sub_f16_e32 v15, v5, v19
	;; [unrolled: 1-line block ×3, first 2 shown]
	v_add_f16_e32 v60, v15, v60
	v_sub_f16_e32 v15, v19, v5
	v_sub_f16_e32 v61, v17, v29
	v_add_f16_e32 v15, v15, v61
	v_add_f16_e32 v61, v5, v29
	v_fma_f16 v61, v61, -0.5, v44
	v_sub_f16_e32 v63, v25, v27
	v_sub_f16_e32 v62, v23, v30
	v_fma_f16 v64, v63, s6, v61
	v_fma_f16 v61, v63, s0, v61
	;; [unrolled: 1-line block ×6, first 2 shown]
	v_pk_add_f16 v15, v0, v4 neg_lo:[0,1] neg_hi:[0,1]
	v_pk_add_f16 v65, v6, v2 neg_lo:[0,1] neg_hi:[0,1]
	v_sub_f16_sdwa v66, v6, v2 dst_sel:DWORD dst_unused:UNUSED_PAD src0_sel:WORD_1 src1_sel:WORD_1
	v_pk_add_f16 v65, v15, v65
	v_sub_f16_sdwa v15, v0, v4 dst_sel:DWORD dst_unused:UNUSED_PAD src0_sel:WORD_1 src1_sel:WORD_1
	v_mul_u32_u24_e32 v1, 0x140, v1
	v_add_f16_e32 v66, v15, v66
	v_lshlrev_b32_e32 v15, 1, v1
	v_pack_b32_f16 v57, v57, v58
	v_mul_u32_u24_e32 v1, 10, v7
	v_add_u32_e32 v58, 0, v15
	v_lshl_add_u32 v1, v1, 1, v58
	v_pack_b32_f16 v54, v59, v54
	ds_write_b32 v1, v57
	ds_write_b32 v1, v54 offset:8
	ds_write_b16 v1, v46 offset:12
	ds_write_b16 v1, v56 offset:18
	v_pk_add_f16 v46, v4, v0 neg_lo:[0,1] neg_hi:[0,1]
	v_pk_add_f16 v54, v2, v6 neg_lo:[0,1] neg_hi:[0,1]
	;; [unrolled: 1-line block ×3, first 2 shown]
	v_pk_add_f16 v46, v46, v54
	v_pk_add_f16 v54, v0, v6
	v_pk_mul_f16 v57, v56, s0 op_sel_hi:[1,0]
	v_pk_fma_f16 v54, v54, 0.5, v43 op_sel_hi:[1,0,1] neg_lo:[1,0,0] neg_hi:[1,0,0]
	v_add_f16_e32 v72, v4, v2
	v_pk_add_f16 v59, v57, v54 op_sel:[1,0] op_sel_hi:[0,1]
	v_pk_add_f16 v54, v54, v57 op_sel:[0,1] op_sel_hi:[1,0] neg_lo:[0,1] neg_hi:[0,1]
	v_pk_add_f16 v57, v0, v6 neg_lo:[0,1] neg_hi:[0,1]
	v_add_f16_e32 v71, v43, v0
	v_pk_mul_f16 v67, v57, s1 op_sel_hi:[1,0]
	v_fma_f16 v72, v72, -0.5, v43
	v_pk_add_f16 v59, v59, v67 op_sel:[0,1] op_sel_hi:[1,0] neg_lo:[0,1] neg_hi:[0,1]
	v_pk_add_f16 v54, v67, v54 op_sel:[1,0] op_sel_hi:[0,1]
	v_pk_fma_f16 v59, v46, s2, v59 op_sel_hi:[1,0,1]
	v_pk_fma_f16 v46, v46, s2, v54 op_sel_hi:[1,0,1]
	v_lshrrev_b32_e32 v67, 16, v59
	v_mul_f16_e32 v54, 0x34f2, v46
	v_fma_f16 v54, v67, s0, v54
	v_mul_f16_e32 v67, 0x34f2, v59
	v_lshrrev_b32_e32 v68, 16, v46
	v_fma_f16 v67, v68, s0, -v67
	v_add_f16_e32 v68, v64, v54
	v_add_f16_e32 v69, v61, v67
	v_lshrrev_b32_e32 v43, 16, v43
	v_add_f16_sdwa v75, v4, v2 dst_sel:DWORD dst_unused:UNUSED_PAD src0_sel:WORD_1 src1_sel:WORD_1
	v_pack_b32_f16 v68, v68, v69
	v_add_f16_e32 v69, v19, v17
	v_fma_f16 v75, v75, -0.5, v43
	v_fma_f16 v69, v69, -0.5, v44
	v_bfi_b32 v65, s7, v65, v56
	v_lshrrev_b32_e32 v73, 16, v57
	v_fma_f16 v76, v57, s6, v75
	v_fma_f16 v70, v62, s0, v69
	v_pk_mul_f16 v65, v65, s9
	v_fma_f16 v74, v73, s0, v72
	v_fma_f16 v76, v56, s3, v76
	;; [unrolled: 1-line block ×4, first 2 shown]
	v_add_f16_sdwa v74, v65, v74 dst_sel:DWORD dst_unused:UNUSED_PAD src0_sel:WORD_1 src1_sel:DWORD
	v_fma_f16 v76, v66, s2, v76
	v_fma_f16 v62, v63, s3, v62
	v_add_f16_e32 v44, v44, v5
	v_fma_f16 v70, v60, s2, v70
	v_add_f16_e32 v74, v65, v74
	v_mul_f16_e32 v77, 0x38b4, v76
	v_fma_f16 v60, v60, s2, v62
	v_fma_f16 v62, v73, s6, v72
	v_add_f16_e32 v44, v44, v19
	v_add_f16_e32 v71, v71, v4
	v_fma_f16 v77, v74, s8, v77
	v_sub_f16_sdwa v62, v62, v65 dst_sel:DWORD dst_unused:UNUSED_PAD src0_sel:DWORD src1_sel:WORD_1
	v_fma_f16 v57, v57, s0, v75
	v_add_f16_e32 v44, v44, v17
	v_add_f16_e32 v71, v71, v2
	;; [unrolled: 1-line block ×3, first 2 shown]
	v_fma_f16 v56, v56, s1, v57
	v_sub_f16_e32 v57, v70, v77
	v_sub_f16_e32 v54, v64, v54
	v_add_f16_e32 v44, v44, v29
	v_add_f16_e32 v71, v71, v6
	v_fma_f16 v56, v66, s2, v56
	v_pack_b32_f16 v54, v57, v54
	v_mul_f16_e32 v57, 0x3a79, v62
	v_add_f16_e32 v78, v44, v71
	v_add_f16_e32 v79, v70, v77
	v_fma_f16 v57, v56, s1, -v57
	v_pack_b32_f16 v78, v78, v79
	v_mul_i32_i24_e32 v79, 10, v12
	v_sub_f16_e32 v44, v44, v71
	v_add_f16_e32 v63, v60, v57
	v_lshl_add_u32 v79, v79, 1, v58
	v_pack_b32_f16 v44, v63, v44
	ds_write2_b32 v79, v44, v54 offset0:2 offset1:3
	v_add_f16_e32 v44, v33, v31
	v_fma_f16 v3, v44, -0.5, v3
	v_sub_f16_e32 v44, v11, v33
	v_sub_f16_e32 v54, v13, v31
	v_add_f16_e32 v44, v44, v54
	v_fma_f16 v54, v47, s6, v3
	v_fma_f16 v3, v47, s0, v3
	;; [unrolled: 1-line block ×6, first 2 shown]
	v_sub_f16_e32 v44, v11, v13
	v_sub_f16_e32 v11, v36, v38
	;; [unrolled: 1-line block ×3, first 2 shown]
	v_add_f16_e32 v47, v11, v13
	v_add_f16_e32 v13, v35, v36
	;; [unrolled: 1-line block ×4, first 2 shown]
	v_sub_f16_e32 v31, v33, v31
	v_sub_f16_e32 v33, v38, v36
	v_add_f16_e32 v63, v13, v41
	v_sub_f16_e32 v13, v39, v41
	v_add_f16_e32 v13, v33, v13
	v_add_f16_sdwa v33, v52, v34 dst_sel:DWORD dst_unused:UNUSED_PAD src0_sel:DWORD src1_sel:WORD_1
	v_add_f16_sdwa v33, v33, v40 dst_sel:DWORD dst_unused:UNUSED_PAD src0_sel:DWORD src1_sel:WORD_1
	v_add_f16_sdwa v33, v33, v37 dst_sel:DWORD dst_unused:UNUSED_PAD src0_sel:DWORD src1_sel:WORD_1
	v_add_f16_e32 v11, v38, v39
	v_add_f16_sdwa v52, v33, v42 dst_sel:DWORD dst_unused:UNUSED_PAD src0_sel:DWORD src1_sel:WORD_1
	v_mul_f16_e32 v33, 0xb8b4, v51
	v_fma_f16 v54, v11, -0.5, v35
	v_add_f16_e32 v11, v36, v41
	v_pk_add_f16 v36, v37, v42 neg_lo:[0,1] neg_hi:[0,1]
	v_fma_f16 v51, v55, s8, v33
	v_sub_f16_e32 v33, v60, v57
	v_sub_f16_e32 v37, v61, v67
	v_fma_f16 v11, v11, -0.5, v35
	v_pack_b32_f16 v33, v37, v33
	ds_write_b32 v79, v33 offset:16
	v_fma_f16 v33, v44, s0, v11
	v_fma_f16 v11, v44, s6, v11
	;; [unrolled: 1-line block ×4, first 2 shown]
	v_pk_add_f16 v35, v40, v34 neg_lo:[0,1] neg_hi:[0,1]
	v_pk_add_f16 v34, v34, v42
	v_pack_b32_f16 v11, v11, v33
	v_mul_f16_e32 v13, 0x34f2, v13
	v_pk_add_f16 v55, v13, v11 op_sel_hi:[0,1]
	v_pk_fma_f16 v11, v34, 0.5, v32 op_sel_hi:[1,0,1] neg_lo:[1,0,0] neg_hi:[1,0,0]
	v_pk_mul_f16 v13, v53, s0 op_sel_hi:[1,0]
	v_pk_mul_f16 v34, v49, s1 op_sel_hi:[1,0]
	v_pk_add_f16 v33, v13, v11 op_sel:[1,0] op_sel_hi:[0,1]
	v_pk_add_f16 v11, v11, v13 op_sel:[0,1] op_sel_hi:[1,0] neg_lo:[0,1] neg_hi:[0,1]
	v_pk_add_f16 v32, v35, v36
	v_pk_add_f16 v33, v33, v34 op_sel:[0,1] op_sel_hi:[1,0] neg_lo:[0,1] neg_hi:[0,1]
	v_pk_add_f16 v11, v34, v11 op_sel:[1,0] op_sel_hi:[0,1]
	v_pk_fma_f16 v33, v32, s2, v33 op_sel_hi:[1,0,1]
	v_pk_fma_f16 v11, v32, s2, v11 op_sel_hi:[1,0,1]
	v_lshrrev_b32_e32 v32, 16, v33
	v_mul_f16_e32 v13, 0x34f2, v11
	v_fma_f16 v13, v32, s0, v13
	v_mul_f16_e32 v32, 0x34f2, v33
	v_lshrrev_b32_e32 v34, 16, v11
	v_fma_f16 v32, v34, s0, -v32
	v_fma_f16 v34, v31, s6, v54
	s_mov_b32 s10, 0x34f23b9c
	v_fma_f16 v34, v44, s3, v34
	s_mov_b32 s9, 0x34f2bb9c
	v_pk_mul_f16 v11, v11, s10
	v_fma_f16 v49, v47, s2, v34
	v_pk_fma_f16 v53, v33, s9, v11 op_sel:[0,0,1] op_sel_hi:[1,1,0] neg_lo:[0,0,1] neg_hi:[0,0,1]
	v_add_f16_e32 v11, v45, v13
	v_add_f16_e32 v33, v3, v32
	v_fma_f16 v31, v31, s0, v54
	v_sub_f16_e32 v13, v45, v13
	v_sub_f16_e32 v32, v3, v32
	v_add_f16_e32 v34, v63, v52
	v_pack_b32_f16 v3, v11, v33
	v_add_f16_e32 v33, v49, v51
	v_pk_add_f16 v80, v55, v53
	v_fma_f16 v31, v44, s1, v31
	v_mul_f16_e32 v44, 0x3a79, v50
	ds_write2_b32 v79, v78, v68 offset1:1
	v_lshlrev_b32_e32 v35, 1, v7
	ds_write_b16 v1, v13 offset:14
	s_movk_i32 s11, 0xffee
	v_pack_b32_f16 v45, v34, v33
	v_lshl_add_u32 v13, v14, 1, v58
	v_alignbit_b32 v80, v80, v80, 16
	v_fma_f16 v31, v47, s2, v31
	v_fma_f16 v44, v48, s3, -v44
	v_bfi_b32 v47, s7, v49, v55
	v_bfi_b32 v48, s7, v51, v53
	ds_write_b32 v1, v3 offset:4
	v_add_u32_e32 v3, v58, v35
	ds_write_b16 v1, v32 offset:16
	v_lshl_add_u32 v11, v20, 1, v58
	v_add3_u32 v32, 0, v35, v15
	v_lshl_add_u32 v37, v22, 1, v58
	v_lshl_add_u32 v39, v24, 1, v58
	;; [unrolled: 1-line block ×6, first 2 shown]
	s_waitcnt lgkmcnt(0)
	; wave barrier
	s_waitcnt lgkmcnt(0)
	v_mad_i32_i24 v38, v12, s11, v79
	ds_read_u16 v42, v13
	ds_read_u16 v57, v39
	;; [unrolled: 1-line block ×4, first 2 shown]
	ds_read_u16 v61, v32 offset:320
	ds_read_u16 v64, v32 offset:352
	ds_read_u16 v65, v32 offset:384
	ds_read_u16 v66, v32 offset:416
	ds_read_u16 v67, v32 offset:512
	ds_read_u16 v68, v32 offset:544
	ds_read_u16 v69, v32 offset:576
	ds_read_u16 v41, v33
	ds_read_u16 v70, v34
	;; [unrolled: 1-line block ×4, first 2 shown]
	ds_read_u16 v72, v32 offset:480
	ds_read_u16 v73, v32 offset:448
	ds_read_u16 v75, v37
	ds_read_u16 v77, v38
	ds_read_u16 v78, v32 offset:608
	s_waitcnt lgkmcnt(0)
	; wave barrier
	s_waitcnt lgkmcnt(0)
	ds_write2_b32 v1, v45, v80 offset1:1
	v_sub_f16_e32 v45, v63, v52
	v_pk_add_f16 v47, v47, v48 neg_lo:[0,1] neg_hi:[0,1]
	v_add_f16_e32 v48, v31, v44
	v_sub_f16_e32 v31, v31, v44
	v_sub_f16_e32 v44, v55, v53
	v_pack_b32_f16 v45, v48, v45
	v_pack_b32_f16 v31, v44, v31
	ds_write2_b32 v1, v45, v47 offset0:2 offset1:3
	ds_write_b32 v1, v31 offset:16
	v_sub_f16_e32 v1, v5, v29
	v_sub_f16_e32 v5, v19, v17
	;; [unrolled: 1-line block ×4, first 2 shown]
	v_add_f16_sdwa v0, v43, v0 dst_sel:DWORD dst_unused:UNUSED_PAD src0_sel:DWORD src1_sel:WORD_1
	v_add_f16_e32 v17, v17, v19
	v_add_f16_e32 v19, v25, v27
	v_add_f16_e32 v29, v23, v30
	v_add_f16_sdwa v0, v0, v4 dst_sel:DWORD dst_unused:UNUSED_PAD src0_sel:DWORD src1_sel:WORD_1
	v_fma_f16 v19, v19, -0.5, v21
	v_fma_f16 v29, v29, -0.5, v21
	v_add_f16_e32 v21, v21, v23
	v_add_f16_sdwa v0, v0, v2 dst_sel:DWORD dst_unused:UNUSED_PAD src0_sel:DWORD src1_sel:WORD_1
	v_add_f16_e32 v21, v21, v25
	v_sub_f16_e32 v23, v25, v23
	v_sub_f16_e32 v25, v27, v30
	v_add_f16_sdwa v0, v0, v6 dst_sel:DWORD dst_unused:UNUSED_PAD src0_sel:DWORD src1_sel:WORD_1
	v_fma_f16 v4, v5, s0, v29
	v_fma_f16 v6, v5, s6, v29
	v_add_f16_e32 v23, v23, v25
	v_fma_f16 v4, v1, s3, v4
	v_fma_f16 v6, v1, s1, v6
	v_pack_b32_f16 v4, v6, v4
	v_mul_f16_e32 v6, 0x34f2, v23
	v_fma_f16 v23, v1, s6, v19
	v_add_f16_e32 v21, v21, v27
	v_mul_f16_e32 v2, 0xb8b4, v74
	v_fma_f16 v23, v5, s3, v23
	v_fma_f16 v1, v1, s0, v19
	v_add_f16_e32 v21, v21, v30
	v_fma_f16 v2, v76, s8, v2
	v_pk_add_f16 v4, v6, v4 op_sel_hi:[0,1]
	v_pk_mul_f16 v6, v46, s10
	v_fma_f16 v23, v17, s2, v23
	v_fma_f16 v1, v5, s1, v1
	v_mul_f16_e32 v5, 0x3a79, v56
	v_pk_fma_f16 v6, v59, s9, v6 op_sel:[0,0,1] op_sel_hi:[1,1,0] neg_lo:[0,0,1] neg_hi:[0,0,1]
	v_add_f16_e32 v25, v21, v0
	v_add_f16_e32 v27, v23, v2
	v_fma_f16 v1, v17, s2, v1
	v_fma_f16 v5, v62, s3, -v5
	v_pack_b32_f16 v25, v25, v27
	v_pk_add_f16 v27, v4, v6
	v_sub_f16_e32 v0, v21, v0
	v_add_f16_e32 v17, v1, v5
	v_sub_f16_e32 v1, v1, v5
	v_sub_f16_e32 v5, v4, v6
	v_bfi_b32 v4, s7, v23, v4
	v_bfi_b32 v2, s7, v2, v6
	v_pk_add_f16 v2, v4, v2 neg_lo:[0,1] neg_hi:[0,1]
	v_pack_b32_f16 v0, v17, v0
	ds_write2_b32 v79, v0, v2 offset0:2 offset1:3
	v_pack_b32_f16 v0, v5, v1
	ds_write_b32 v79, v0 offset:16
	v_add_u32_e32 v0, -10, v7
	v_cmp_gt_u32_e64 s[0:1], 10, v7
	v_alignbit_b32 v27, v27, v27, 16
	ds_write2_b32 v79, v25, v27 offset1:1
	v_cndmask_b32_e64 v17, v0, v7, s[0:1]
	s_movk_i32 s0, 0xcd
	v_mul_lo_u16_sdwa v25, v14, s0 dst_sel:DWORD dst_unused:UNUSED_PAD src0_sel:BYTE_0 src1_sel:DWORD
	v_lshrrev_b16_e32 v25, 11, v25
	v_mul_i32_i24_e32 v30, 3, v17
	v_mov_b32_e32 v31, 0
	v_mul_lo_u16_e32 v27, 10, v25
	v_lshl_add_u64 v[0:1], v[30:31], 2, s[4:5]
	v_mov_b32_e32 v23, 3
	v_sub_u16_e32 v27, v14, v27
	s_waitcnt lgkmcnt(0)
	; wave barrier
	s_waitcnt lgkmcnt(0)
	global_load_dwordx3 v[4:6], v[0:1], off
	v_mul_u32_u24_sdwa v29, v27, v23 dst_sel:DWORD dst_unused:UNUSED_PAD src0_sel:BYTE_0 src1_sel:DWORD
	v_lshlrev_b32_e32 v29, 2, v29
	global_load_dwordx3 v[44:46], v29, s[4:5]
	v_mul_lo_u16_sdwa v0, v12, s0 dst_sel:DWORD dst_unused:UNUSED_PAD src0_sel:BYTE_0 src1_sel:DWORD
	v_lshrrev_b16_e32 v19, 11, v0
	v_mul_lo_u16_e32 v0, 10, v19
	v_sub_u16_e32 v21, v12, v0
	v_mul_u32_u24_sdwa v0, v21, v23 dst_sel:DWORD dst_unused:UNUSED_PAD src0_sel:BYTE_0 src1_sel:DWORD
	v_lshlrev_b32_e32 v0, 2, v0
	global_load_dwordx3 v[0:2], v0, s[4:5]
	v_mul_lo_u16_sdwa v29, v16, s0 dst_sel:DWORD dst_unused:UNUSED_PAD src0_sel:BYTE_0 src1_sel:DWORD
	v_lshrrev_b16_e32 v29, 11, v29
	v_mul_lo_u16_e32 v30, 10, v29
	v_sub_u16_e32 v30, v16, v30
	;; [unrolled: 7-line block ×3, first 2 shown]
	v_mul_u32_u24_sdwa v23, v47, v23 dst_sel:DWORD dst_unused:UNUSED_PAD src0_sel:BYTE_0 src1_sel:DWORD
	v_lshlrev_b32_e32 v23, 2, v23
	global_load_dwordx3 v[52:54], v23, s[4:5]
	ds_read_u16 v23, v11
	ds_read_u16 v51, v32 offset:320
	ds_read_u16 v55, v32 offset:352
	;; [unrolled: 1-line block ×6, first 2 shown]
	ds_read_u16 v74, v3
	v_cmp_lt_u32_e64 s[0:1], 9, v7
	v_lshlrev_b32_e32 v17, 1, v17
	s_waitcnt vmcnt(4) lgkmcnt(7)
	v_mul_f16_sdwa v76, v23, v4 dst_sel:DWORD dst_unused:UNUSED_PAD src0_sel:DWORD src1_sel:WORD_1
	v_fma_f16 v76, v60, v4, -v76
	v_mul_f16_sdwa v60, v60, v4 dst_sel:DWORD dst_unused:UNUSED_PAD src0_sel:DWORD src1_sel:WORD_1
	v_fma_f16 v4, v23, v4, v60
	s_waitcnt lgkmcnt(6)
	v_mul_f16_sdwa v23, v51, v5 dst_sel:DWORD dst_unused:UNUSED_PAD src0_sel:DWORD src1_sel:WORD_1
	v_mul_f16_sdwa v60, v61, v5 dst_sel:DWORD dst_unused:UNUSED_PAD src0_sel:DWORD src1_sel:WORD_1
	v_fma_f16 v23, v61, v5, -v23
	v_fma_f16 v5, v51, v5, v60
	ds_read_u16 v51, v37
	s_waitcnt lgkmcnt(3)
	v_mul_f16_sdwa v60, v62, v6 dst_sel:DWORD dst_unused:UNUSED_PAD src0_sel:DWORD src1_sel:WORD_1
	v_mul_f16_sdwa v61, v72, v6 dst_sel:DWORD dst_unused:UNUSED_PAD src0_sel:DWORD src1_sel:WORD_1
	v_fma_f16 v60, v72, v6, -v60
	v_fma_f16 v6, v62, v6, v61
	s_waitcnt vmcnt(2) lgkmcnt(0)
	v_mul_f16_sdwa v83, v51, v0 dst_sel:DWORD dst_unused:UNUSED_PAD src0_sel:DWORD src1_sel:WORD_1
	v_fma_f16 v83, v75, v0, -v83
	v_mul_f16_sdwa v75, v75, v0 dst_sel:DWORD dst_unused:UNUSED_PAD src0_sel:DWORD src1_sel:WORD_1
	ds_read_u16 v61, v32 offset:512
	ds_read_u16 v62, v32 offset:544
	;; [unrolled: 1-line block ×4, first 2 shown]
	ds_read_u16 v80, v39
	ds_read_u16 v81, v13
	;; [unrolled: 1-line block ×3, first 2 shown]
	v_fma_f16 v0, v51, v0, v75
	v_mul_f16_sdwa v51, v55, v1 dst_sel:DWORD dst_unused:UNUSED_PAD src0_sel:DWORD src1_sel:WORD_1
	v_fma_f16 v51, v64, v1, -v51
	v_mul_f16_sdwa v64, v64, v1 dst_sel:DWORD dst_unused:UNUSED_PAD src0_sel:DWORD src1_sel:WORD_1
	v_fma_f16 v1, v55, v1, v64
	s_waitcnt lgkmcnt(6)
	v_mul_f16_sdwa v55, v61, v2 dst_sel:DWORD dst_unused:UNUSED_PAD src0_sel:DWORD src1_sel:WORD_1
	v_mul_f16_sdwa v64, v67, v2 dst_sel:DWORD dst_unused:UNUSED_PAD src0_sel:DWORD src1_sel:WORD_1
	v_fma_f16 v55, v67, v2, -v55
	v_fma_f16 v2, v61, v2, v64
	s_waitcnt lgkmcnt(2)
	v_mul_f16_sdwa v61, v80, v44 dst_sel:DWORD dst_unused:UNUSED_PAD src0_sel:DWORD src1_sel:WORD_1
	v_fma_f16 v61, v57, v44, -v61
	v_mul_f16_sdwa v57, v57, v44 dst_sel:DWORD dst_unused:UNUSED_PAD src0_sel:DWORD src1_sel:WORD_1
	v_fma_f16 v44, v80, v44, v57
	v_mul_f16_sdwa v57, v56, v45 dst_sel:DWORD dst_unused:UNUSED_PAD src0_sel:DWORD src1_sel:WORD_1
	v_fma_f16 v57, v65, v45, -v57
	v_mul_f16_sdwa v64, v65, v45 dst_sel:DWORD dst_unused:UNUSED_PAD src0_sel:DWORD src1_sel:WORD_1
	ds_read_u16 v65, v34
	v_fma_f16 v45, v56, v45, v64
	v_mul_f16_sdwa v56, v62, v46 dst_sel:DWORD dst_unused:UNUSED_PAD src0_sel:DWORD src1_sel:WORD_1
	v_fma_f16 v56, v68, v46, -v56
	v_mul_f16_sdwa v64, v68, v46 dst_sel:DWORD dst_unused:UNUSED_PAD src0_sel:DWORD src1_sel:WORD_1
	s_waitcnt vmcnt(1) lgkmcnt(0)
	v_mul_f16_sdwa v68, v65, v48 dst_sel:DWORD dst_unused:UNUSED_PAD src0_sel:DWORD src1_sel:WORD_1
	v_fma_f16 v68, v70, v48, -v68
	v_mul_f16_sdwa v70, v70, v48 dst_sel:DWORD dst_unused:UNUSED_PAD src0_sel:DWORD src1_sel:WORD_1
	v_fma_f16 v46, v62, v46, v64
	ds_read_u16 v62, v36
	ds_read_u16 v64, v35
	ds_read_u16 v67, v33
	v_fma_f16 v48, v65, v48, v70
	v_mul_f16_sdwa v65, v59, v49 dst_sel:DWORD dst_unused:UNUSED_PAD src0_sel:DWORD src1_sel:WORD_1
	v_fma_f16 v65, v66, v49, -v65
	v_mul_f16_sdwa v66, v66, v49 dst_sel:DWORD dst_unused:UNUSED_PAD src0_sel:DWORD src1_sel:WORD_1
	v_fma_f16 v49, v59, v49, v66
	v_mul_f16_sdwa v59, v72, v50 dst_sel:DWORD dst_unused:UNUSED_PAD src0_sel:DWORD src1_sel:WORD_1
	v_mul_f16_sdwa v66, v69, v50 dst_sel:DWORD dst_unused:UNUSED_PAD src0_sel:DWORD src1_sel:WORD_1
	v_fma_f16 v59, v69, v50, -v59
	v_fma_f16 v50, v72, v50, v66
	s_waitcnt vmcnt(0) lgkmcnt(2)
	v_mul_f16_sdwa v66, v62, v52 dst_sel:DWORD dst_unused:UNUSED_PAD src0_sel:DWORD src1_sel:WORD_1
	v_mul_f16_sdwa v69, v71, v52 dst_sel:DWORD dst_unused:UNUSED_PAD src0_sel:DWORD src1_sel:WORD_1
	v_fma_f16 v66, v71, v52, -v66
	v_fma_f16 v52, v62, v52, v69
	v_mul_f16_sdwa v62, v63, v53 dst_sel:DWORD dst_unused:UNUSED_PAD src0_sel:DWORD src1_sel:WORD_1
	v_mul_f16_sdwa v69, v73, v53 dst_sel:DWORD dst_unused:UNUSED_PAD src0_sel:DWORD src1_sel:WORD_1
	v_fma_f16 v62, v73, v53, -v62
	v_fma_f16 v53, v63, v53, v69
	;; [unrolled: 4-line block ×3, first 2 shown]
	v_mov_b32_e32 v69, 0x50
	v_cndmask_b32_e64 v69, 0, v69, s[0:1]
	v_add_u32_e32 v69, 0, v69
	v_add3_u32 v69, v69, v17, v15
	v_sub_f16_e32 v17, v58, v23
	v_fma_f16 v23, v58, 2.0, -v17
	v_sub_f16_e32 v58, v76, v60
	v_fma_f16 v60, v76, 2.0, -v58
	v_sub_f16_e32 v6, v4, v6
	v_sub_f16_e32 v60, v23, v60
	v_fma_f16 v4, v4, 2.0, -v6
	v_sub_f16_e32 v6, v17, v6
	v_fma_f16 v23, v23, 2.0, -v60
	v_fma_f16 v17, v17, 2.0, -v6
	s_waitcnt lgkmcnt(0)
	; wave barrier
	s_waitcnt lgkmcnt(0)
	ds_write_b16 v69, v23
	ds_write_b16 v69, v17 offset:20
	ds_write_b16 v69, v60 offset:40
	;; [unrolled: 1-line block ×3, first 2 shown]
	s_movk_i32 s0, 0x50
	v_mov_b32_e32 v17, 1
	v_mad_u32_u24 v6, v19, s0, 0
	v_lshlrev_b32_sdwa v19, v17, v21 dst_sel:DWORD dst_unused:UNUSED_PAD src0_sel:DWORD src1_sel:BYTE_0
	v_add3_u32 v6, v6, v19, v15
	v_sub_f16_e32 v19, v77, v51
	v_sub_f16_e32 v23, v83, v55
	v_fma_f16 v21, v77, 2.0, -v19
	v_fma_f16 v51, v83, 2.0, -v23
	v_sub_f16_e32 v51, v21, v51
	v_fma_f16 v21, v21, 2.0, -v51
	v_sub_f16_e32 v2, v0, v2
	ds_write_b16 v6, v21
	v_sub_f16_e32 v21, v19, v2
	v_fma_f16 v19, v19, 2.0, -v21
	ds_write_b16 v6, v19 offset:20
	ds_write_b16 v6, v51 offset:40
	;; [unrolled: 1-line block ×3, first 2 shown]
	v_mad_u32_u24 v19, v25, s0, 0
	v_lshlrev_b32_sdwa v21, v17, v27 dst_sel:DWORD dst_unused:UNUSED_PAD src0_sel:DWORD src1_sel:BYTE_0
	v_add3_u32 v21, v19, v21, v15
	v_sub_f16_e32 v19, v42, v57
	v_sub_f16_e32 v27, v61, v56
	v_fma_f16 v25, v42, 2.0, -v19
	v_fma_f16 v42, v61, 2.0, -v27
	v_sub_f16_e32 v42, v25, v42
	v_fma_f16 v25, v25, 2.0, -v42
	ds_write_b16 v21, v25
	v_sub_f16_e32 v25, v44, v46
	v_sub_f16_e32 v46, v19, v25
	v_fma_f16 v19, v19, 2.0, -v46
	ds_write_b16 v21, v19 offset:20
	ds_write_b16 v21, v42 offset:40
	;; [unrolled: 1-line block ×3, first 2 shown]
	v_mad_u32_u24 v19, v29, s0, 0
	v_lshlrev_b32_sdwa v29, v17, v30 dst_sel:DWORD dst_unused:UNUSED_PAD src0_sel:DWORD src1_sel:BYTE_0
	v_add3_u32 v29, v19, v29, v15
	v_sub_f16_e32 v19, v41, v65
	v_fma_f16 v30, v41, 2.0, -v19
	v_sub_f16_e32 v41, v68, v59
	v_fma_f16 v42, v68, 2.0, -v41
	;; [unrolled: 2-line block ×3, first 2 shown]
	ds_write_b16 v29, v30
	v_sub_f16_e32 v30, v48, v50
	v_sub_f16_e32 v46, v19, v30
	v_fma_f16 v19, v19, 2.0, -v46
	ds_write_b16 v29, v19 offset:20
	ds_write_b16 v29, v42 offset:40
	;; [unrolled: 1-line block ×3, first 2 shown]
	v_lshlrev_b32_sdwa v17, v17, v47 dst_sel:DWORD dst_unused:UNUSED_PAD src0_sel:DWORD src1_sel:BYTE_0
	v_mad_u32_u24 v19, v43, s0, 0
	v_add3_u32 v42, v19, v17, v15
	v_sub_f16_e32 v17, v40, v62
	v_fma_f16 v19, v40, 2.0, -v17
	v_sub_f16_e32 v40, v66, v63
	v_fma_f16 v43, v66, 2.0, -v40
	;; [unrolled: 2-line block ×3, first 2 shown]
	v_sub_f16_e32 v46, v52, v54
	ds_write_b16 v42, v19
	v_sub_f16_e32 v19, v17, v46
	v_fma_f16 v17, v17, 2.0, -v19
	v_sub_f16_e32 v5, v74, v5
	ds_write_b16 v42, v17 offset:20
	ds_write_b16 v42, v43 offset:40
	;; [unrolled: 1-line block ×3, first 2 shown]
	v_fma_f16 v17, v74, 2.0, -v5
	v_sub_f16_e32 v4, v17, v4
	v_sub_f16_e32 v1, v82, v1
	v_fma_f16 v43, v17, 2.0, -v4
	v_fma_f16 v0, v0, 2.0, -v2
	;; [unrolled: 1-line block ×3, first 2 shown]
	s_waitcnt lgkmcnt(0)
	; wave barrier
	s_waitcnt lgkmcnt(0)
	ds_read_u16 v47, v13
	ds_read_u16 v51, v39
	;; [unrolled: 1-line block ×4, first 2 shown]
	ds_read_u16 v56, v32 offset:320
	ds_read_u16 v57, v32 offset:352
	;; [unrolled: 1-line block ×7, first 2 shown]
	ds_read_u16 v19, v33
	ds_read_u16 v65, v34
	;; [unrolled: 1-line block ×4, first 2 shown]
	ds_read_u16 v68, v32 offset:480
	ds_read_u16 v70, v32 offset:448
	ds_read_u16 v71, v37
	ds_read_u16 v72, v38
	ds_read_u16 v73, v32 offset:608
	s_waitcnt lgkmcnt(0)
	; wave barrier
	s_waitcnt lgkmcnt(0)
	ds_write_b16 v69, v43
	v_add_f16_e32 v43, v5, v58
	v_sub_f16_e32 v0, v2, v0
	v_fma_f16 v5, v5, 2.0, -v43
	v_fma_f16 v2, v2, 2.0, -v0
	ds_write_b16 v69, v5 offset:20
	ds_write_b16 v69, v4 offset:40
	;; [unrolled: 1-line block ×3, first 2 shown]
	ds_write_b16 v6, v2
	v_add_f16_e32 v2, v1, v23
	v_fma_f16 v1, v1, 2.0, -v2
	ds_write_b16 v6, v1 offset:20
	ds_write_b16 v6, v0 offset:40
	;; [unrolled: 1-line block ×3, first 2 shown]
	v_sub_f16_e32 v1, v81, v45
	v_fma_f16 v0, v44, 2.0, -v25
	v_fma_f16 v2, v81, 2.0, -v1
	v_sub_f16_e32 v0, v2, v0
	v_fma_f16 v2, v2, 2.0, -v0
	ds_write_b16 v21, v2
	v_add_f16_e32 v2, v1, v27
	v_fma_f16 v1, v1, 2.0, -v2
	ds_write_b16 v21, v1 offset:20
	ds_write_b16 v21, v0 offset:40
	;; [unrolled: 1-line block ×3, first 2 shown]
	v_sub_f16_e32 v2, v67, v49
	v_fma_f16 v0, v48, 2.0, -v30
	v_fma_f16 v4, v67, 2.0, -v2
	v_sub_f16_e32 v0, v4, v0
	v_fma_f16 v4, v4, 2.0, -v0
	ds_write_b16 v29, v4
	v_add_f16_e32 v4, v2, v41
	v_fma_f16 v2, v2, 2.0, -v4
	ds_write_b16 v29, v2 offset:20
	ds_write_b16 v29, v0 offset:40
	v_sub_f16_e32 v0, v64, v53
	v_fma_f16 v1, v52, 2.0, -v46
	v_fma_f16 v2, v64, 2.0, -v0
	v_add_f16_e32 v5, v0, v40
	v_sub_f16_e32 v1, v2, v1
	v_fma_f16 v0, v0, 2.0, -v5
	v_fma_f16 v2, v2, 2.0, -v1
	ds_write_b16 v29, v4 offset:60
	ds_write_b16 v42, v2
	ds_write_b16 v42, v0 offset:20
	ds_write_b16 v42, v1 offset:40
	;; [unrolled: 1-line block ×3, first 2 shown]
	v_mul_u32_u24_e32 v0, 3, v7
	v_lshlrev_b32_e32 v21, 2, v0
	s_waitcnt lgkmcnt(0)
	; wave barrier
	s_waitcnt lgkmcnt(0)
	global_load_dwordx3 v[0:2], v21, s[4:5] offset:120
	v_mul_i32_i24_e32 v30, 3, v12
	v_lshl_add_u64 v[4:5], v[30:31], 2, s[4:5]
	global_load_dwordx3 v[4:6], v[4:5], off offset:120
	v_add_u32_e32 v7, -8, v7
	v_cmp_gt_u32_e64 s[0:1], 40, v14
	s_nop 1
	v_cndmask_b32_e64 v7, v7, v14, s[0:1]
	v_mul_i32_i24_e32 v30, 3, v7
	v_lshl_add_u64 v[52:53], v[30:31], 2, s[4:5]
	global_load_dwordx3 v[40:42], v[52:53], off offset:120
	global_load_dwordx3 v[44:46], v21, s[4:5] offset:216
	global_load_dwordx3 v[48:50], v21, s[4:5] offset:408
	ds_read_u16 v21, v11
	ds_read_u16 v23, v32 offset:320
	ds_read_u16 v25, v32 offset:352
	;; [unrolled: 1-line block ×6, first 2 shown]
	ds_read_u16 v52, v3
	v_cmp_lt_u32_e64 s[0:1], 39, v14
	v_lshlrev_b32_e32 v7, 1, v7
	s_waitcnt vmcnt(4) lgkmcnt(7)
	v_mul_f16_sdwa v53, v21, v0 dst_sel:DWORD dst_unused:UNUSED_PAD src0_sel:DWORD src1_sel:WORD_1
	v_fma_f16 v53, v55, v0, -v53
	v_mul_f16_sdwa v55, v55, v0 dst_sel:DWORD dst_unused:UNUSED_PAD src0_sel:DWORD src1_sel:WORD_1
	v_fma_f16 v0, v21, v0, v55
	s_waitcnt lgkmcnt(6)
	v_mul_f16_sdwa v21, v23, v1 dst_sel:DWORD dst_unused:UNUSED_PAD src0_sel:DWORD src1_sel:WORD_1
	v_mul_f16_sdwa v55, v56, v1 dst_sel:DWORD dst_unused:UNUSED_PAD src0_sel:DWORD src1_sel:WORD_1
	v_fma_f16 v21, v56, v1, -v21
	v_fma_f16 v1, v23, v1, v55
	ds_read_u16 v55, v37
	s_waitcnt lgkmcnt(3)
	v_mul_f16_sdwa v23, v30, v2 dst_sel:DWORD dst_unused:UNUSED_PAD src0_sel:DWORD src1_sel:WORD_1
	v_mul_f16_sdwa v56, v68, v2 dst_sel:DWORD dst_unused:UNUSED_PAD src0_sel:DWORD src1_sel:WORD_1
	v_fma_f16 v23, v68, v2, -v23
	v_fma_f16 v2, v30, v2, v56
	s_waitcnt vmcnt(3) lgkmcnt(0)
	v_mul_f16_sdwa v74, v55, v4 dst_sel:DWORD dst_unused:UNUSED_PAD src0_sel:DWORD src1_sel:WORD_1
	v_fma_f16 v74, v71, v4, -v74
	v_mul_f16_sdwa v71, v71, v4 dst_sel:DWORD dst_unused:UNUSED_PAD src0_sel:DWORD src1_sel:WORD_1
	ds_read_u16 v30, v32 offset:512
	ds_read_u16 v56, v32 offset:544
	;; [unrolled: 1-line block ×4, first 2 shown]
	ds_read_u16 v67, v39
	ds_read_u16 v68, v13
	;; [unrolled: 1-line block ×3, first 2 shown]
	v_fma_f16 v4, v55, v4, v71
	v_mul_f16_sdwa v55, v25, v5 dst_sel:DWORD dst_unused:UNUSED_PAD src0_sel:DWORD src1_sel:WORD_1
	v_fma_f16 v55, v57, v5, -v55
	v_mul_f16_sdwa v57, v57, v5 dst_sel:DWORD dst_unused:UNUSED_PAD src0_sel:DWORD src1_sel:WORD_1
	v_fma_f16 v25, v25, v5, v57
	s_waitcnt lgkmcnt(6)
	v_mul_f16_sdwa v5, v30, v6 dst_sel:DWORD dst_unused:UNUSED_PAD src0_sel:DWORD src1_sel:WORD_1
	v_mul_f16_sdwa v57, v61, v6 dst_sel:DWORD dst_unused:UNUSED_PAD src0_sel:DWORD src1_sel:WORD_1
	v_fma_f16 v5, v61, v6, -v5
	v_fma_f16 v6, v30, v6, v57
	s_waitcnt vmcnt(2) lgkmcnt(2)
	v_mul_f16_sdwa v30, v67, v40 dst_sel:DWORD dst_unused:UNUSED_PAD src0_sel:DWORD src1_sel:WORD_1
	v_fma_f16 v30, v51, v40, -v30
	v_mul_f16_sdwa v51, v51, v40 dst_sel:DWORD dst_unused:UNUSED_PAD src0_sel:DWORD src1_sel:WORD_1
	v_fma_f16 v40, v67, v40, v51
	v_mul_f16_sdwa v51, v27, v41 dst_sel:DWORD dst_unused:UNUSED_PAD src0_sel:DWORD src1_sel:WORD_1
	v_fma_f16 v51, v59, v41, -v51
	v_mul_f16_sdwa v57, v59, v41 dst_sel:DWORD dst_unused:UNUSED_PAD src0_sel:DWORD src1_sel:WORD_1
	ds_read_u16 v59, v34
	v_fma_f16 v27, v27, v41, v57
	v_mul_f16_sdwa v41, v56, v42 dst_sel:DWORD dst_unused:UNUSED_PAD src0_sel:DWORD src1_sel:WORD_1
	v_fma_f16 v41, v62, v42, -v41
	v_mul_f16_sdwa v57, v62, v42 dst_sel:DWORD dst_unused:UNUSED_PAD src0_sel:DWORD src1_sel:WORD_1
	s_waitcnt vmcnt(1) lgkmcnt(0)
	v_mul_f16_sdwa v62, v59, v44 dst_sel:DWORD dst_unused:UNUSED_PAD src0_sel:DWORD src1_sel:WORD_1
	v_fma_f16 v62, v65, v44, -v62
	v_mul_f16_sdwa v65, v65, v44 dst_sel:DWORD dst_unused:UNUSED_PAD src0_sel:DWORD src1_sel:WORD_1
	v_fma_f16 v42, v56, v42, v57
	ds_read_u16 v56, v36
	ds_read_u16 v57, v35
	ds_read_u16 v61, v33
	v_fma_f16 v59, v59, v44, v65
	v_mul_f16_sdwa v44, v29, v45 dst_sel:DWORD dst_unused:UNUSED_PAD src0_sel:DWORD src1_sel:WORD_1
	v_fma_f16 v44, v60, v45, -v44
	v_mul_f16_sdwa v60, v60, v45 dst_sel:DWORD dst_unused:UNUSED_PAD src0_sel:DWORD src1_sel:WORD_1
	v_fma_f16 v29, v29, v45, v60
	v_mul_f16_sdwa v45, v58, v46 dst_sel:DWORD dst_unused:UNUSED_PAD src0_sel:DWORD src1_sel:WORD_1
	v_mul_f16_sdwa v60, v63, v46 dst_sel:DWORD dst_unused:UNUSED_PAD src0_sel:DWORD src1_sel:WORD_1
	v_fma_f16 v45, v63, v46, -v45
	v_fma_f16 v46, v58, v46, v60
	s_waitcnt vmcnt(0) lgkmcnt(2)
	v_mul_f16_sdwa v58, v56, v48 dst_sel:DWORD dst_unused:UNUSED_PAD src0_sel:DWORD src1_sel:WORD_1
	v_mul_f16_sdwa v60, v66, v48 dst_sel:DWORD dst_unused:UNUSED_PAD src0_sel:DWORD src1_sel:WORD_1
	v_fma_f16 v58, v66, v48, -v58
	v_fma_f16 v56, v56, v48, v60
	v_mul_f16_sdwa v48, v43, v49 dst_sel:DWORD dst_unused:UNUSED_PAD src0_sel:DWORD src1_sel:WORD_1
	v_mul_f16_sdwa v60, v70, v49 dst_sel:DWORD dst_unused:UNUSED_PAD src0_sel:DWORD src1_sel:WORD_1
	v_fma_f16 v48, v70, v49, -v48
	v_fma_f16 v60, v43, v49, v60
	;; [unrolled: 4-line block ×3, first 2 shown]
	v_mov_b32_e32 v50, 0x140
	v_cndmask_b32_e64 v50, 0, v50, s[0:1]
	v_add_u32_e32 v50, 0, v50
	v_add3_u32 v15, v50, v7, v15
	v_sub_f16_e32 v7, v54, v21
	v_sub_f16_e32 v23, v53, v23
	v_fma_f16 v21, v54, 2.0, -v7
	v_fma_f16 v50, v53, 2.0, -v23
	v_sub_f16_e32 v2, v0, v2
	v_sub_f16_e32 v50, v21, v50
	v_fma_f16 v0, v0, 2.0, -v2
	v_sub_f16_e32 v2, v7, v2
	v_fma_f16 v21, v21, 2.0, -v50
	v_fma_f16 v7, v7, 2.0, -v2
	s_waitcnt lgkmcnt(0)
	; wave barrier
	s_waitcnt lgkmcnt(0)
	ds_write_b16 v32, v21
	ds_write_b16 v32, v7 offset:80
	ds_write_b16 v32, v50 offset:160
	;; [unrolled: 1-line block ×3, first 2 shown]
	v_sub_f16_e32 v2, v72, v55
	v_sub_f16_e32 v21, v74, v5
	v_fma_f16 v7, v72, 2.0, -v2
	v_fma_f16 v5, v74, 2.0, -v21
	v_sub_f16_e32 v6, v4, v6
	v_sub_f16_e32 v5, v7, v5
	v_fma_f16 v53, v4, 2.0, -v6
	v_sub_f16_e32 v4, v2, v6
	v_fma_f16 v7, v7, 2.0, -v5
	v_fma_f16 v2, v2, 2.0, -v4
	ds_write_b16 v38, v7
	ds_write_b16 v38, v2 offset:80
	ds_write_b16 v38, v5 offset:160
	;; [unrolled: 1-line block ×3, first 2 shown]
	v_sub_f16_e32 v2, v47, v51
	v_sub_f16_e32 v54, v30, v41
	v_fma_f16 v4, v47, 2.0, -v2
	v_fma_f16 v5, v30, 2.0, -v54
	v_sub_f16_e32 v5, v4, v5
	v_fma_f16 v4, v4, 2.0, -v5
	v_sub_f16_e32 v63, v52, v1
	ds_write_b16 v15, v4
	v_sub_f16_e32 v4, v40, v42
	v_fma_f16 v1, v52, 2.0, -v63
	v_fma_f16 v55, v40, 2.0, -v4
	v_sub_f16_e32 v4, v2, v4
	v_sub_f16_e32 v52, v1, v0
	;; [unrolled: 1-line block ×3, first 2 shown]
	v_fma_f16 v2, v2, 2.0, -v4
	v_fma_f16 v64, v1, 2.0, -v52
	;; [unrolled: 1-line block ×3, first 2 shown]
	v_sub_f16_e32 v19, v62, v45
	ds_write_b16 v15, v2 offset:80
	ds_write_b16 v15, v5 offset:160
	ds_write_b16 v15, v4 offset:240
	v_fma_f16 v2, v62, 2.0, -v19
	v_sub_f16_e32 v2, v1, v2
	v_sub_f16_e32 v65, v59, v46
	v_fma_f16 v1, v1, 2.0, -v2
	v_sub_f16_e32 v4, v17, v48
	ds_write_b16 v32, v1 offset:336
	v_sub_f16_e32 v1, v0, v65
	v_fma_f16 v5, v17, 2.0, -v4
	v_sub_f16_e32 v17, v58, v43
	v_fma_f16 v0, v0, 2.0, -v1
	;; [unrolled: 2-line block ×3, first 2 shown]
	v_sub_f16_e32 v6, v5, v6
	ds_write_b16 v32, v0 offset:416
	v_sub_f16_e32 v0, v4, v62
	v_fma_f16 v5, v5, 2.0, -v6
	v_fma_f16 v4, v4, 2.0, -v0
	ds_write_b16 v32, v2 offset:496
	ds_write_b16 v32, v1 offset:576
	;; [unrolled: 1-line block ×6, first 2 shown]
	s_waitcnt lgkmcnt(0)
	; wave barrier
	s_waitcnt lgkmcnt(0)
	ds_read_u16 v0, v3
	ds_read_u16 v5, v33
	ds_read_u16 v4, v32 offset:384
	ds_read_u16 v6, v32 offset:416
	;; [unrolled: 1-line block ×6, first 2 shown]
	ds_read_u16 v41, v11
	ds_read_u16 v45, v36
	;; [unrolled: 1-line block ×4, first 2 shown]
	ds_read_u16 v48, v32 offset:512
	ds_read_u16 v49, v32 offset:544
	;; [unrolled: 1-line block ×3, first 2 shown]
	ds_read_u16 v47, v39
	ds_read_u16 v40, v13
	ds_read_u16 v46, v37
	ds_read_u16 v7, v38
	ds_read_u16 v51, v32 offset:608
	v_add_f16_e32 v23, v63, v23
	v_fma_f16 v58, v63, 2.0, -v23
	s_waitcnt lgkmcnt(0)
	; wave barrier
	s_waitcnt lgkmcnt(0)
	ds_write_b16 v32, v64
	ds_write_b16 v32, v58 offset:80
	ds_write_b16 v32, v52 offset:160
	;; [unrolled: 1-line block ×3, first 2 shown]
	v_sub_f16_e32 v23, v69, v25
	v_fma_f16 v25, v69, 2.0, -v23
	v_sub_f16_e32 v52, v25, v53
	v_add_f16_e32 v21, v23, v21
	v_fma_f16 v25, v25, 2.0, -v52
	v_fma_f16 v23, v23, 2.0, -v21
	ds_write_b16 v38, v25
	ds_write_b16 v38, v23 offset:80
	ds_write_b16 v38, v52 offset:160
	;; [unrolled: 1-line block ×3, first 2 shown]
	v_sub_f16_e32 v21, v68, v27
	v_fma_f16 v23, v68, 2.0, -v21
	v_sub_f16_e32 v25, v23, v55
	v_fma_f16 v23, v23, 2.0, -v25
	ds_write_b16 v15, v23
	v_add_f16_e32 v23, v21, v54
	v_fma_f16 v21, v21, 2.0, -v23
	ds_write_b16 v15, v21 offset:80
	ds_write_b16 v15, v25 offset:160
	;; [unrolled: 1-line block ×3, first 2 shown]
	v_sub_f16_e32 v21, v61, v29
	v_fma_f16 v15, v59, 2.0, -v65
	v_fma_f16 v23, v61, 2.0, -v21
	v_sub_f16_e32 v25, v57, v60
	v_sub_f16_e32 v15, v23, v15
	v_fma_f16 v27, v57, 2.0, -v25
	v_fma_f16 v29, v56, 2.0, -v62
	;; [unrolled: 1-line block ×3, first 2 shown]
	v_add_f16_e32 v19, v21, v19
	v_sub_f16_e32 v29, v27, v29
	v_add_f16_e32 v17, v25, v17
	v_fma_f16 v21, v21, 2.0, -v19
	v_fma_f16 v27, v27, 2.0, -v29
	;; [unrolled: 1-line block ×3, first 2 shown]
	ds_write_b16 v32, v23 offset:336
	ds_write_b16 v32, v21 offset:416
	;; [unrolled: 1-line block ×8, first 2 shown]
	s_waitcnt lgkmcnt(0)
	; wave barrier
	s_waitcnt lgkmcnt(0)
	s_and_saveexec_b64 s[0:1], vcc
	s_cbranch_execz .LBB0_15
; %bb.14:
	v_mov_b32_e32 v29, v31
	v_mov_b32_e32 v27, v31
	;; [unrolled: 1-line block ×5, first 2 shown]
	v_lshl_add_u64 v[28:29], v[28:29], 2, s[4:5]
	v_lshl_add_u64 v[26:27], v[26:27], 2, s[4:5]
	;; [unrolled: 1-line block ×5, first 2 shown]
	global_load_dword v28, v[28:29], off offset:600
	v_mov_b32_e32 v19, v31
	global_load_dword v26, v[26:27], off offset:600
	v_lshl_add_u64 v[18:19], v[18:19], 2, s[4:5]
	global_load_dword v24, v[24:25], off offset:600
	v_mov_b32_e32 v17, v31
	global_load_dword v22, v[22:23], off offset:600
	v_lshl_add_u64 v[16:17], v[16:17], 2, s[4:5]
	;; [unrolled: 4-line block ×3, first 2 shown]
	global_load_dword v16, v[16:17], off offset:600
	s_waitcnt vmcnt(6)
	v_mul_f16_sdwa v55, v51, v28 dst_sel:DWORD dst_unused:UNUSED_PAD src0_sel:DWORD src1_sel:WORD_1
	global_load_dword v14, v[14:15], off offset:600
	ds_read_u16 v15, v39
	ds_read_u16 v17, v13
	v_mov_b32_e32 v13, v31
	v_lshl_add_u64 v[12:13], v[12:13], 2, s[4:5]
	ds_read_u16 v19, v37
	ds_read_u16 v21, v38
	global_load_dword v12, v[12:13], off offset:600
	ds_read_u16 v13, v32 offset:608
	ds_read_u16 v23, v32 offset:576
	;; [unrolled: 1-line block ×4, first 2 shown]
	ds_read_u16 v29, v36
	ds_read_u16 v35, v35
	;; [unrolled: 1-line block ×4, first 2 shown]
	ds_read_u16 v36, v32 offset:320
	global_load_dword v37, v10, s[4:5] offset:600
	ds_read_u16 v38, v32 offset:480
	ds_read_u16 v39, v32 offset:448
	;; [unrolled: 1-line block ×5, first 2 shown]
	ds_read_u16 v11, v11
	ds_read_u16 v3, v3
	s_waitcnt lgkmcnt(14)
	v_mul_f16_sdwa v54, v13, v28 dst_sel:DWORD dst_unused:UNUSED_PAD src0_sel:DWORD src1_sel:WORD_1
	s_waitcnt vmcnt(8)
	v_mul_f16_sdwa v56, v23, v26 dst_sel:DWORD dst_unused:UNUSED_PAD src0_sel:DWORD src1_sel:WORD_1
	v_mul_f16_sdwa v57, v50, v26 dst_sel:DWORD dst_unused:UNUSED_PAD src0_sel:DWORD src1_sel:WORD_1
	s_waitcnt vmcnt(7) lgkmcnt(13)
	v_mul_f16_sdwa v58, v25, v24 dst_sel:DWORD dst_unused:UNUSED_PAD src0_sel:DWORD src1_sel:WORD_1
	v_mul_f16_sdwa v59, v49, v24 dst_sel:DWORD dst_unused:UNUSED_PAD src0_sel:DWORD src1_sel:WORD_1
	s_waitcnt vmcnt(6) lgkmcnt(12)
	;; [unrolled: 3-line block ×3, first 2 shown]
	v_mul_f16_sdwa v62, v38, v20 dst_sel:DWORD dst_unused:UNUSED_PAD src0_sel:DWORD src1_sel:WORD_1
	v_mul_f16_sdwa v63, v43, v20 dst_sel:DWORD dst_unused:UNUSED_PAD src0_sel:DWORD src1_sel:WORD_1
	v_fma_f16 v51, v51, v28, -v54
	v_fma_f16 v13, v28, v13, v55
	v_fma_f16 v28, v50, v26, -v56
	v_fma_f16 v23, v26, v23, v57
	v_fma_f16 v26, v49, v24, -v58
	v_fma_f16 v24, v24, v25, v59
	v_fma_f16 v25, v48, v22, -v60
	v_fma_f16 v22, v22, v27, v61
	v_fma_f16 v27, v43, v20, -v62
	v_fma_f16 v20, v20, v38, v63
	v_sub_f16_e32 v38, v45, v51
	v_sub_f16_e32 v26, v47, v26
	s_waitcnt lgkmcnt(1)
	v_sub_f16_e32 v20, v11, v20
	v_fma_f16 v43, v45, 2.0, -v38
	v_fma_f16 v45, v47, 2.0, -v26
	;; [unrolled: 1-line block ×3, first 2 shown]
	s_waitcnt vmcnt(4)
	v_mul_f16_sdwa v11, v39, v18 dst_sel:DWORD dst_unused:UNUSED_PAD src0_sel:DWORD src1_sel:WORD_1
	v_fma_f16 v11, v30, v18, -v11
	v_sub_f16_e32 v48, v42, v11
	v_mul_f16_sdwa v11, v30, v18 dst_sel:DWORD dst_unused:UNUSED_PAD src0_sel:DWORD src1_sel:WORD_1
	v_fma_f16 v11, v18, v39, v11
	v_sub_f16_e32 v18, v35, v11
	s_waitcnt vmcnt(3)
	v_mul_f16_sdwa v11, v52, v16 dst_sel:DWORD dst_unused:UNUSED_PAD src0_sel:DWORD src1_sel:WORD_1
	v_fma_f16 v11, v6, v16, -v11
	v_mul_f16_sdwa v6, v6, v16 dst_sel:DWORD dst_unused:UNUSED_PAD src0_sel:DWORD src1_sel:WORD_1
	v_fma_f16 v30, v35, 2.0, -v18
	v_sub_f16_e32 v35, v5, v11
	v_fma_f16 v6, v16, v52, v6
	v_sub_f16_e32 v6, v33, v6
	v_fma_f16 v16, v33, 2.0, -v6
	v_fma_f16 v5, v5, 2.0, -v35
	;; [unrolled: 1-line block ×3, first 2 shown]
	v_sub_f16_e32 v27, v41, v27
	v_fma_f16 v41, v41, 2.0, -v27
	v_sub_f16_e32 v25, v46, v25
	v_sub_f16_e32 v22, v19, v22
	v_fma_f16 v46, v46, 2.0, -v25
	v_fma_f16 v19, v19, 2.0, -v22
	v_sub_f16_e32 v24, v15, v24
	v_fma_f16 v15, v15, 2.0, -v24
	v_sub_f16_e32 v28, v44, v28
	v_sub_f16_e32 v23, v34, v23
	v_fma_f16 v44, v44, 2.0, -v28
	v_fma_f16 v34, v34, 2.0, -v23
	v_sub_f16_e32 v13, v29, v13
	v_fma_f16 v29, v29, 2.0, -v13
	s_waitcnt vmcnt(2)
	v_mul_f16_sdwa v11, v53, v14 dst_sel:DWORD dst_unused:UNUSED_PAD src0_sel:DWORD src1_sel:WORD_1
	v_fma_f16 v11, v4, v14, -v11
	v_sub_f16_e32 v33, v40, v11
	v_mul_f16_sdwa v4, v4, v14 dst_sel:DWORD dst_unused:UNUSED_PAD src0_sel:DWORD src1_sel:WORD_1
	v_fma_f16 v4, v14, v53, v4
	s_waitcnt vmcnt(1)
	v_mul_f16_sdwa v11, v32, v12 dst_sel:DWORD dst_unused:UNUSED_PAD src0_sel:DWORD src1_sel:WORD_1
	v_fma_f16 v11, v2, v12, -v11
	v_mul_f16_sdwa v2, v2, v12 dst_sel:DWORD dst_unused:UNUSED_PAD src0_sel:DWORD src1_sel:WORD_1
	v_fma_f16 v2, v12, v32, v2
	v_sub_f16_e32 v2, v21, v2
	v_fma_f16 v12, v21, 2.0, -v2
	s_waitcnt vmcnt(0)
	v_mul_f16_sdwa v21, v36, v37 dst_sel:DWORD dst_unused:UNUSED_PAD src0_sel:DWORD src1_sel:WORD_1
	v_fma_f16 v21, v1, v37, -v21
	v_sub_f16_e32 v4, v17, v4
	v_sub_f16_e32 v21, v0, v21
	v_fma_f16 v14, v17, 2.0, -v4
	v_sub_f16_e32 v17, v7, v11
	v_mov_b32_e32 v11, v31
	v_fma_f16 v31, v0, 2.0, -v21
	v_mul_f16_sdwa v0, v1, v37 dst_sel:DWORD dst_unused:UNUSED_PAD src0_sel:DWORD src1_sel:WORD_1
	v_fma_f16 v0, v37, v36, v0
	v_fma_f16 v39, v40, 2.0, -v33
	s_waitcnt lgkmcnt(0)
	v_sub_f16_e32 v32, v3, v0
	v_lshl_add_u64 v[0:1], v[8:9], 0, v[10:11]
	v_pack_b32_f16 v2, v17, v2
	global_store_dword v[0:1], v2, off offset:704
	v_pack_b32_f16 v2, v39, v14
	global_store_dword v[0:1], v2, off offset:128
	;; [unrolled: 2-line block ×12, first 2 shown]
	v_pack_b32_f16 v2, v26, v24
	v_fma_f16 v3, v3, 2.0, -v32
	global_store_dword v[0:1], v2, off offset:1088
	v_pack_b32_f16 v2, v44, v34
	v_pack_b32_f16 v3, v31, v3
	global_store_dword v[0:1], v2, off offset:512
	v_pack_b32_f16 v2, v28, v23
	v_fma_f16 v7, v7, 2.0, -v17
	global_store_dword v[0:1], v3, off
	v_pack_b32_f16 v3, v21, v32
	global_store_dword v[0:1], v2, off offset:1152
	v_pack_b32_f16 v2, v43, v29
	global_store_dword v[0:1], v3, off offset:640
	;; [unrolled: 2-line block ×4, first 2 shown]
	global_store_dword v[0:1], v2, off offset:1216
.LBB0_15:
	s_endpgm
	.section	.rodata,"a",@progbits
	.p2align	6, 0x0
	.amdhsa_kernel fft_rtc_fwd_len320_factors_10_4_4_2_wgs_64_tpt_16_halfLds_half_ip_CI_unitstride_sbrr_dirReg
		.amdhsa_group_segment_fixed_size 0
		.amdhsa_private_segment_fixed_size 0
		.amdhsa_kernarg_size 88
		.amdhsa_user_sgpr_count 2
		.amdhsa_user_sgpr_dispatch_ptr 0
		.amdhsa_user_sgpr_queue_ptr 0
		.amdhsa_user_sgpr_kernarg_segment_ptr 1
		.amdhsa_user_sgpr_dispatch_id 0
		.amdhsa_user_sgpr_kernarg_preload_length 0
		.amdhsa_user_sgpr_kernarg_preload_offset 0
		.amdhsa_user_sgpr_private_segment_size 0
		.amdhsa_uses_dynamic_stack 0
		.amdhsa_enable_private_segment 0
		.amdhsa_system_sgpr_workgroup_id_x 1
		.amdhsa_system_sgpr_workgroup_id_y 0
		.amdhsa_system_sgpr_workgroup_id_z 0
		.amdhsa_system_sgpr_workgroup_info 0
		.amdhsa_system_vgpr_workitem_id 0
		.amdhsa_next_free_vgpr 84
		.amdhsa_next_free_sgpr 22
		.amdhsa_accum_offset 84
		.amdhsa_reserve_vcc 1
		.amdhsa_float_round_mode_32 0
		.amdhsa_float_round_mode_16_64 0
		.amdhsa_float_denorm_mode_32 3
		.amdhsa_float_denorm_mode_16_64 3
		.amdhsa_dx10_clamp 1
		.amdhsa_ieee_mode 1
		.amdhsa_fp16_overflow 0
		.amdhsa_tg_split 0
		.amdhsa_exception_fp_ieee_invalid_op 0
		.amdhsa_exception_fp_denorm_src 0
		.amdhsa_exception_fp_ieee_div_zero 0
		.amdhsa_exception_fp_ieee_overflow 0
		.amdhsa_exception_fp_ieee_underflow 0
		.amdhsa_exception_fp_ieee_inexact 0
		.amdhsa_exception_int_div_zero 0
	.end_amdhsa_kernel
	.text
.Lfunc_end0:
	.size	fft_rtc_fwd_len320_factors_10_4_4_2_wgs_64_tpt_16_halfLds_half_ip_CI_unitstride_sbrr_dirReg, .Lfunc_end0-fft_rtc_fwd_len320_factors_10_4_4_2_wgs_64_tpt_16_halfLds_half_ip_CI_unitstride_sbrr_dirReg
                                        ; -- End function
	.section	.AMDGPU.csdata,"",@progbits
; Kernel info:
; codeLenInByte = 9152
; NumSgprs: 28
; NumVgprs: 84
; NumAgprs: 0
; TotalNumVgprs: 84
; ScratchSize: 0
; MemoryBound: 0
; FloatMode: 240
; IeeeMode: 1
; LDSByteSize: 0 bytes/workgroup (compile time only)
; SGPRBlocks: 3
; VGPRBlocks: 10
; NumSGPRsForWavesPerEU: 28
; NumVGPRsForWavesPerEU: 84
; AccumOffset: 84
; Occupancy: 5
; WaveLimiterHint : 1
; COMPUTE_PGM_RSRC2:SCRATCH_EN: 0
; COMPUTE_PGM_RSRC2:USER_SGPR: 2
; COMPUTE_PGM_RSRC2:TRAP_HANDLER: 0
; COMPUTE_PGM_RSRC2:TGID_X_EN: 1
; COMPUTE_PGM_RSRC2:TGID_Y_EN: 0
; COMPUTE_PGM_RSRC2:TGID_Z_EN: 0
; COMPUTE_PGM_RSRC2:TIDIG_COMP_CNT: 0
; COMPUTE_PGM_RSRC3_GFX90A:ACCUM_OFFSET: 20
; COMPUTE_PGM_RSRC3_GFX90A:TG_SPLIT: 0
	.text
	.p2alignl 6, 3212836864
	.fill 256, 4, 3212836864
	.type	__hip_cuid_8650e3adb2e5d45a,@object ; @__hip_cuid_8650e3adb2e5d45a
	.section	.bss,"aw",@nobits
	.globl	__hip_cuid_8650e3adb2e5d45a
__hip_cuid_8650e3adb2e5d45a:
	.byte	0                               ; 0x0
	.size	__hip_cuid_8650e3adb2e5d45a, 1

	.ident	"AMD clang version 19.0.0git (https://github.com/RadeonOpenCompute/llvm-project roc-6.4.0 25133 c7fe45cf4b819c5991fe208aaa96edf142730f1d)"
	.section	".note.GNU-stack","",@progbits
	.addrsig
	.addrsig_sym __hip_cuid_8650e3adb2e5d45a
	.amdgpu_metadata
---
amdhsa.kernels:
  - .agpr_count:     0
    .args:
      - .actual_access:  read_only
        .address_space:  global
        .offset:         0
        .size:           8
        .value_kind:     global_buffer
      - .offset:         8
        .size:           8
        .value_kind:     by_value
      - .actual_access:  read_only
        .address_space:  global
        .offset:         16
        .size:           8
        .value_kind:     global_buffer
      - .actual_access:  read_only
        .address_space:  global
        .offset:         24
        .size:           8
        .value_kind:     global_buffer
      - .offset:         32
        .size:           8
        .value_kind:     by_value
      - .actual_access:  read_only
        .address_space:  global
        .offset:         40
        .size:           8
        .value_kind:     global_buffer
      - .actual_access:  read_only
        .address_space:  global
        .offset:         48
        .size:           8
        .value_kind:     global_buffer
      - .offset:         56
        .size:           4
        .value_kind:     by_value
      - .actual_access:  read_only
        .address_space:  global
        .offset:         64
        .size:           8
        .value_kind:     global_buffer
      - .actual_access:  read_only
        .address_space:  global
        .offset:         72
        .size:           8
        .value_kind:     global_buffer
      - .address_space:  global
        .offset:         80
        .size:           8
        .value_kind:     global_buffer
    .group_segment_fixed_size: 0
    .kernarg_segment_align: 8
    .kernarg_segment_size: 88
    .language:       OpenCL C
    .language_version:
      - 2
      - 0
    .max_flat_workgroup_size: 64
    .name:           fft_rtc_fwd_len320_factors_10_4_4_2_wgs_64_tpt_16_halfLds_half_ip_CI_unitstride_sbrr_dirReg
    .private_segment_fixed_size: 0
    .sgpr_count:     28
    .sgpr_spill_count: 0
    .symbol:         fft_rtc_fwd_len320_factors_10_4_4_2_wgs_64_tpt_16_halfLds_half_ip_CI_unitstride_sbrr_dirReg.kd
    .uniform_work_group_size: 1
    .uses_dynamic_stack: false
    .vgpr_count:     84
    .vgpr_spill_count: 0
    .wavefront_size: 64
amdhsa.target:   amdgcn-amd-amdhsa--gfx950
amdhsa.version:
  - 1
  - 2
...

	.end_amdgpu_metadata
